;; amdgpu-corpus repo=ROCm/aiter kind=compiled arch=gfx1250 opt=O3
	.amdgcn_target "amdgcn-amd-amdhsa--gfx1250"
	.amdhsa_code_object_version 6
	.section	.text._Z17vector_add_kernelILi256ELi4EEvPKfS1_Pfi,"axG",@progbits,_Z17vector_add_kernelILi256ELi4EEvPKfS1_Pfi,comdat
	.protected	_Z17vector_add_kernelILi256ELi4EEvPKfS1_Pfi ; -- Begin function _Z17vector_add_kernelILi256ELi4EEvPKfS1_Pfi
	.globl	_Z17vector_add_kernelILi256ELi4EEvPKfS1_Pfi
	.p2align	8
	.type	_Z17vector_add_kernelILi256ELi4EEvPKfS1_Pfi,@function
_Z17vector_add_kernelILi256ELi4EEvPKfS1_Pfi: ; @_Z17vector_add_kernelILi256ELi4EEvPKfS1_Pfi
; %bb.0:
	s_load_b32 s12, s[2:3], 0x18
	s_bfe_u32 s4, ttmp6, 0x4000c
	s_and_b32 s5, ttmp6, 15
	s_add_co_i32 s4, s4, 1
	v_lshlrev_b32_e32 v1, 2, v0
	s_mul_i32 s4, ttmp9, s4
	s_mov_b32 s13, 0
	s_add_co_i32 s5, s5, s4
	s_getreg_b32 s4, hwreg(HW_REG_IB_STS2, 6, 4)
	s_delay_alu instid0(SALU_CYCLE_1) | instskip(SKIP_4) | instid1(VALU_DEP_1)
	s_cmp_eq_u32 s4, 0
	s_cselect_b32 s4, ttmp9, s5
	s_mov_b32 s5, exec_lo
	v_lshl_add_u32 v1, s4, 10, v1
	s_wait_kmcnt 0x0
	v_cmpx_gt_i32_e64 s12, v1
	s_cbranch_execz .LBB0_3
; %bb.1:
	s_clause 0x1
	s_load_b128 s[16:19], s[2:3], 0x0
	s_load_b64 s[8:9], s[2:3], 0x10
	s_load_b32 s11, s[0:1], 0xc
	v_lshlrev_b32_e32 v0, 4, v0
	s_wait_xcnt 0x0
	s_mov_b64 s[2:3], 0x1ffffff
	s_mov_b64 s[6:7], 0x1ffffff
	s_mov_b32 s10, s2
	v_lshl_add_u32 v0, s4, 12, v0
	s_wait_kmcnt 0x0
	s_or_b32 s17, s17, 0xfe000000
	s_or_b32 s19, s19, 0xfe000000
	s_or_b64 s[4:5], s[8:9], 0xfe00000000000000
	s_lshl_b32 s14, s11, 2
	s_lshl_b32 s15, s11, 4
	s_mov_b32 s0, s16
	s_mov_b32 s8, s18
	;; [unrolled: 1-line block ×5, first 2 shown]
.LBB0_2:                                ; =>This Inner Loop Header: Depth=1
	buffer_load_b128 v[2:5], v0, s[0:3], null offen
	buffer_load_b128 v[6:9], v0, s[8:11], null offen
	v_add_nc_u32_e32 v1, s14, v1
	s_wait_loadcnt 0x0
	v_pk_add_f32 v[4:5], v[4:5], v[8:9]
	v_pk_add_f32 v[2:3], v[2:3], v[6:7]
	buffer_store_b128 v[2:5], v0, s[4:7], null offen
	s_wait_xcnt 0x0
	v_add_nc_u32_e32 v0, s15, v0
	v_cmp_le_i32_e32 vcc_lo, s12, v1
	s_or_b32 s13, vcc_lo, s13
	s_delay_alu instid0(SALU_CYCLE_1)
	s_and_not1_b32 exec_lo, exec_lo, s13
	s_cbranch_execnz .LBB0_2
.LBB0_3:
	s_endpgm
	.section	.rodata,"a",@progbits
	.p2align	6, 0x0
	.amdhsa_kernel _Z17vector_add_kernelILi256ELi4EEvPKfS1_Pfi
		.amdhsa_group_segment_fixed_size 0
		.amdhsa_private_segment_fixed_size 0
		.amdhsa_kernarg_size 28
		.amdhsa_user_sgpr_count 4
		.amdhsa_user_sgpr_dispatch_ptr 1
		.amdhsa_user_sgpr_queue_ptr 0
		.amdhsa_user_sgpr_kernarg_segment_ptr 1
		.amdhsa_user_sgpr_dispatch_id 0
		.amdhsa_user_sgpr_kernarg_preload_length 0
		.amdhsa_user_sgpr_kernarg_preload_offset 0
		.amdhsa_user_sgpr_private_segment_size 0
		.amdhsa_wavefront_size32 1
		.amdhsa_uses_dynamic_stack 0
		.amdhsa_enable_private_segment 0
		.amdhsa_system_sgpr_workgroup_id_x 1
		.amdhsa_system_sgpr_workgroup_id_y 0
		.amdhsa_system_sgpr_workgroup_id_z 0
		.amdhsa_system_sgpr_workgroup_info 0
		.amdhsa_system_vgpr_workitem_id 0
		.amdhsa_next_free_vgpr 10
		.amdhsa_next_free_sgpr 20
		.amdhsa_named_barrier_count 0
		.amdhsa_reserve_vcc 1
		.amdhsa_float_round_mode_32 0
		.amdhsa_float_round_mode_16_64 0
		.amdhsa_float_denorm_mode_32 3
		.amdhsa_float_denorm_mode_16_64 3
		.amdhsa_fp16_overflow 0
		.amdhsa_memory_ordered 1
		.amdhsa_forward_progress 1
		.amdhsa_inst_pref_size 3
		.amdhsa_round_robin_scheduling 0
		.amdhsa_exception_fp_ieee_invalid_op 0
		.amdhsa_exception_fp_denorm_src 0
		.amdhsa_exception_fp_ieee_div_zero 0
		.amdhsa_exception_fp_ieee_overflow 0
		.amdhsa_exception_fp_ieee_underflow 0
		.amdhsa_exception_fp_ieee_inexact 0
		.amdhsa_exception_int_div_zero 0
	.end_amdhsa_kernel
	.section	.text._Z17vector_add_kernelILi256ELi4EEvPKfS1_Pfi,"axG",@progbits,_Z17vector_add_kernelILi256ELi4EEvPKfS1_Pfi,comdat
.Lfunc_end0:
	.size	_Z17vector_add_kernelILi256ELi4EEvPKfS1_Pfi, .Lfunc_end0-_Z17vector_add_kernelILi256ELi4EEvPKfS1_Pfi
                                        ; -- End function
	.set _Z17vector_add_kernelILi256ELi4EEvPKfS1_Pfi.num_vgpr, 10
	.set _Z17vector_add_kernelILi256ELi4EEvPKfS1_Pfi.num_agpr, 0
	.set _Z17vector_add_kernelILi256ELi4EEvPKfS1_Pfi.numbered_sgpr, 20
	.set _Z17vector_add_kernelILi256ELi4EEvPKfS1_Pfi.num_named_barrier, 0
	.set _Z17vector_add_kernelILi256ELi4EEvPKfS1_Pfi.private_seg_size, 0
	.set _Z17vector_add_kernelILi256ELi4EEvPKfS1_Pfi.uses_vcc, 1
	.set _Z17vector_add_kernelILi256ELi4EEvPKfS1_Pfi.uses_flat_scratch, 0
	.set _Z17vector_add_kernelILi256ELi4EEvPKfS1_Pfi.has_dyn_sized_stack, 0
	.set _Z17vector_add_kernelILi256ELi4EEvPKfS1_Pfi.has_recursion, 0
	.set _Z17vector_add_kernelILi256ELi4EEvPKfS1_Pfi.has_indirect_call, 0
	.section	.AMDGPU.csdata,"",@progbits
; Kernel info:
; codeLenInByte = 300
; TotalNumSgprs: 22
; NumVgprs: 10
; ScratchSize: 0
; MemoryBound: 0
; FloatMode: 240
; IeeeMode: 1
; LDSByteSize: 0 bytes/workgroup (compile time only)
; SGPRBlocks: 0
; VGPRBlocks: 0
; NumSGPRsForWavesPerEU: 22
; NumVGPRsForWavesPerEU: 10
; NamedBarCnt: 0
; Occupancy: 16
; WaveLimiterHint : 0
; COMPUTE_PGM_RSRC2:SCRATCH_EN: 0
; COMPUTE_PGM_RSRC2:USER_SGPR: 4
; COMPUTE_PGM_RSRC2:TRAP_HANDLER: 0
; COMPUTE_PGM_RSRC2:TGID_X_EN: 1
; COMPUTE_PGM_RSRC2:TGID_Y_EN: 0
; COMPUTE_PGM_RSRC2:TGID_Z_EN: 0
; COMPUTE_PGM_RSRC2:TIDIG_COMP_CNT: 0
	.section	.AMDGPU.gpr_maximums,"",@progbits
	.set amdgpu.max_num_vgpr, 0
	.set amdgpu.max_num_agpr, 0
	.set amdgpu.max_num_sgpr, 0
	.section	.AMDGPU.csdata,"",@progbits
	.type	__hip_cuid_71e780ea64d5bf0e,@object ; @__hip_cuid_71e780ea64d5bf0e
	.section	.bss,"aw",@nobits
	.globl	__hip_cuid_71e780ea64d5bf0e
__hip_cuid_71e780ea64d5bf0e:
	.byte	0                               ; 0x0
	.size	__hip_cuid_71e780ea64d5bf0e, 1

	.ident	"AMD clang version 22.0.0git (https://github.com/RadeonOpenCompute/llvm-project roc-7.2.4 26084 f58b06dce1f9c15707c5f808fd002e18c2accf7e)"
	.section	".note.GNU-stack","",@progbits
	.addrsig
	.addrsig_sym __hip_cuid_71e780ea64d5bf0e
	.amdgpu_metadata
---
amdhsa.kernels:
  - .args:
      - .address_space:  global
        .offset:         0
        .size:           8
        .value_kind:     global_buffer
      - .address_space:  global
        .offset:         8
        .size:           8
        .value_kind:     global_buffer
      - .address_space:  global
        .offset:         16
        .size:           8
        .value_kind:     global_buffer
      - .offset:         24
        .size:           4
        .value_kind:     by_value
    .group_segment_fixed_size: 0
    .kernarg_segment_align: 8
    .kernarg_segment_size: 28
    .language:       OpenCL C
    .language_version:
      - 2
      - 0
    .max_flat_workgroup_size: 1024
    .name:           _Z17vector_add_kernelILi256ELi4EEvPKfS1_Pfi
    .private_segment_fixed_size: 0
    .sgpr_count:     22
    .sgpr_spill_count: 0
    .symbol:         _Z17vector_add_kernelILi256ELi4EEvPKfS1_Pfi.kd
    .uniform_work_group_size: 1
    .uses_dynamic_stack: false
    .vgpr_count:     10
    .vgpr_spill_count: 0
    .wavefront_size: 32
amdhsa.target:   amdgcn-amd-amdhsa--gfx1250
amdhsa.version:
  - 1
  - 2
...

	.end_amdgpu_metadata
